;; amdgpu-corpus repo=ROCm/rocFFT kind=compiled arch=gfx906 opt=O3
	.text
	.amdgcn_target "amdgcn-amd-amdhsa--gfx906"
	.amdhsa_code_object_version 6
	.protected	fft_rtc_back_len320_factors_10_4_4_2_wgs_64_tpt_16_halfLds_dp_op_CI_CI_unitstride_sbrr_C2R_dirReg ; -- Begin function fft_rtc_back_len320_factors_10_4_4_2_wgs_64_tpt_16_halfLds_dp_op_CI_CI_unitstride_sbrr_C2R_dirReg
	.globl	fft_rtc_back_len320_factors_10_4_4_2_wgs_64_tpt_16_halfLds_dp_op_CI_CI_unitstride_sbrr_C2R_dirReg
	.p2align	8
	.type	fft_rtc_back_len320_factors_10_4_4_2_wgs_64_tpt_16_halfLds_dp_op_CI_CI_unitstride_sbrr_C2R_dirReg,@function
fft_rtc_back_len320_factors_10_4_4_2_wgs_64_tpt_16_halfLds_dp_op_CI_CI_unitstride_sbrr_C2R_dirReg: ; @fft_rtc_back_len320_factors_10_4_4_2_wgs_64_tpt_16_halfLds_dp_op_CI_CI_unitstride_sbrr_C2R_dirReg
; %bb.0:
	s_load_dwordx4 s[8:11], s[4:5], 0x58
	s_load_dwordx4 s[12:15], s[4:5], 0x0
	;; [unrolled: 1-line block ×3, first 2 shown]
	v_lshrrev_b32_e32 v7, 4, v0
	v_mov_b32_e32 v3, 0
	v_mov_b32_e32 v1, 0
	s_waitcnt lgkmcnt(0)
	v_cmp_lt_u64_e64 s[0:1], s[14:15], 2
	v_lshl_or_b32 v5, s6, 2, v7
	v_mov_b32_e32 v6, v3
	s_and_b64 vcc, exec, s[0:1]
	v_mov_b32_e32 v2, 0
	s_cbranch_vccnz .LBB0_8
; %bb.1:
	s_load_dwordx2 s[0:1], s[4:5], 0x10
	s_add_u32 s2, s18, 8
	s_addc_u32 s3, s19, 0
	s_add_u32 s6, s16, 8
	v_mov_b32_e32 v1, 0
	s_addc_u32 s7, s17, 0
	v_mov_b32_e32 v2, 0
	s_waitcnt lgkmcnt(0)
	s_add_u32 s20, s0, 8
	v_mov_b32_e32 v81, v2
	s_addc_u32 s21, s1, 0
	s_mov_b64 s[22:23], 1
	v_mov_b32_e32 v80, v1
.LBB0_2:                                ; =>This Inner Loop Header: Depth=1
	s_load_dwordx2 s[24:25], s[20:21], 0x0
                                        ; implicit-def: $vgpr84_vgpr85
	s_waitcnt lgkmcnt(0)
	v_or_b32_e32 v4, s25, v6
	v_cmp_ne_u64_e32 vcc, 0, v[3:4]
	s_and_saveexec_b64 s[0:1], vcc
	s_xor_b64 s[26:27], exec, s[0:1]
	s_cbranch_execz .LBB0_4
; %bb.3:                                ;   in Loop: Header=BB0_2 Depth=1
	v_cvt_f32_u32_e32 v4, s24
	v_cvt_f32_u32_e32 v8, s25
	s_sub_u32 s0, 0, s24
	s_subb_u32 s1, 0, s25
	v_mac_f32_e32 v4, 0x4f800000, v8
	v_rcp_f32_e32 v4, v4
	v_mul_f32_e32 v4, 0x5f7ffffc, v4
	v_mul_f32_e32 v8, 0x2f800000, v4
	v_trunc_f32_e32 v8, v8
	v_mac_f32_e32 v4, 0xcf800000, v8
	v_cvt_u32_f32_e32 v8, v8
	v_cvt_u32_f32_e32 v4, v4
	v_mul_lo_u32 v9, s0, v8
	v_mul_hi_u32 v10, s0, v4
	v_mul_lo_u32 v12, s1, v4
	v_mul_lo_u32 v11, s0, v4
	v_add_u32_e32 v9, v10, v9
	v_add_u32_e32 v9, v9, v12
	v_mul_hi_u32 v10, v4, v11
	v_mul_lo_u32 v12, v4, v9
	v_mul_hi_u32 v14, v4, v9
	v_mul_hi_u32 v13, v8, v11
	v_mul_lo_u32 v11, v8, v11
	v_mul_hi_u32 v15, v8, v9
	v_add_co_u32_e32 v10, vcc, v10, v12
	v_addc_co_u32_e32 v12, vcc, 0, v14, vcc
	v_mul_lo_u32 v9, v8, v9
	v_add_co_u32_e32 v10, vcc, v10, v11
	v_addc_co_u32_e32 v10, vcc, v12, v13, vcc
	v_addc_co_u32_e32 v11, vcc, 0, v15, vcc
	v_add_co_u32_e32 v9, vcc, v10, v9
	v_addc_co_u32_e32 v10, vcc, 0, v11, vcc
	v_add_co_u32_e32 v4, vcc, v4, v9
	v_addc_co_u32_e32 v8, vcc, v8, v10, vcc
	v_mul_lo_u32 v9, s0, v8
	v_mul_hi_u32 v10, s0, v4
	v_mul_lo_u32 v11, s1, v4
	v_mul_lo_u32 v12, s0, v4
	v_add_u32_e32 v9, v10, v9
	v_add_u32_e32 v9, v9, v11
	v_mul_lo_u32 v13, v4, v9
	v_mul_hi_u32 v14, v4, v12
	v_mul_hi_u32 v15, v4, v9
	v_mul_hi_u32 v11, v8, v12
	v_mul_lo_u32 v12, v8, v12
	v_mul_hi_u32 v10, v8, v9
	v_add_co_u32_e32 v13, vcc, v14, v13
	v_addc_co_u32_e32 v14, vcc, 0, v15, vcc
	v_mul_lo_u32 v9, v8, v9
	v_add_co_u32_e32 v12, vcc, v13, v12
	v_addc_co_u32_e32 v11, vcc, v14, v11, vcc
	v_addc_co_u32_e32 v10, vcc, 0, v10, vcc
	v_add_co_u32_e32 v9, vcc, v11, v9
	v_addc_co_u32_e32 v10, vcc, 0, v10, vcc
	v_add_co_u32_e32 v4, vcc, v4, v9
	v_addc_co_u32_e32 v10, vcc, v8, v10, vcc
	v_mad_u64_u32 v[8:9], s[0:1], v5, v10, 0
	v_mul_hi_u32 v11, v5, v4
	v_add_co_u32_e32 v12, vcc, v11, v8
	v_addc_co_u32_e32 v13, vcc, 0, v9, vcc
	v_mad_u64_u32 v[8:9], s[0:1], v6, v4, 0
	v_mad_u64_u32 v[10:11], s[0:1], v6, v10, 0
	v_add_co_u32_e32 v4, vcc, v12, v8
	v_addc_co_u32_e32 v4, vcc, v13, v9, vcc
	v_addc_co_u32_e32 v8, vcc, 0, v11, vcc
	v_add_co_u32_e32 v4, vcc, v4, v10
	v_addc_co_u32_e32 v10, vcc, 0, v8, vcc
	v_mul_lo_u32 v11, s25, v4
	v_mul_lo_u32 v12, s24, v10
	v_mad_u64_u32 v[8:9], s[0:1], s24, v4, 0
	v_add3_u32 v9, v9, v12, v11
	v_sub_u32_e32 v11, v6, v9
	v_mov_b32_e32 v12, s25
	v_sub_co_u32_e32 v8, vcc, v5, v8
	v_subb_co_u32_e64 v11, s[0:1], v11, v12, vcc
	v_subrev_co_u32_e64 v12, s[0:1], s24, v8
	v_subbrev_co_u32_e64 v11, s[0:1], 0, v11, s[0:1]
	v_cmp_le_u32_e64 s[0:1], s25, v11
	v_cndmask_b32_e64 v13, 0, -1, s[0:1]
	v_cmp_le_u32_e64 s[0:1], s24, v12
	v_cndmask_b32_e64 v12, 0, -1, s[0:1]
	v_cmp_eq_u32_e64 s[0:1], s25, v11
	v_cndmask_b32_e64 v11, v13, v12, s[0:1]
	v_add_co_u32_e64 v12, s[0:1], 2, v4
	v_addc_co_u32_e64 v13, s[0:1], 0, v10, s[0:1]
	v_add_co_u32_e64 v14, s[0:1], 1, v4
	v_addc_co_u32_e64 v15, s[0:1], 0, v10, s[0:1]
	v_subb_co_u32_e32 v9, vcc, v6, v9, vcc
	v_cmp_ne_u32_e64 s[0:1], 0, v11
	v_cmp_le_u32_e32 vcc, s25, v9
	v_cndmask_b32_e64 v11, v15, v13, s[0:1]
	v_cndmask_b32_e64 v13, 0, -1, vcc
	v_cmp_le_u32_e32 vcc, s24, v8
	v_cndmask_b32_e64 v8, 0, -1, vcc
	v_cmp_eq_u32_e32 vcc, s25, v9
	v_cndmask_b32_e32 v8, v13, v8, vcc
	v_cmp_ne_u32_e32 vcc, 0, v8
	v_cndmask_b32_e64 v8, v14, v12, s[0:1]
	v_cndmask_b32_e32 v85, v10, v11, vcc
	v_cndmask_b32_e32 v84, v4, v8, vcc
.LBB0_4:                                ;   in Loop: Header=BB0_2 Depth=1
	s_andn2_saveexec_b64 s[0:1], s[26:27]
	s_cbranch_execz .LBB0_6
; %bb.5:                                ;   in Loop: Header=BB0_2 Depth=1
	v_cvt_f32_u32_e32 v4, s24
	s_sub_i32 s26, 0, s24
	v_mov_b32_e32 v85, v3
	v_rcp_iflag_f32_e32 v4, v4
	v_mul_f32_e32 v4, 0x4f7ffffe, v4
	v_cvt_u32_f32_e32 v4, v4
	v_mul_lo_u32 v8, s26, v4
	v_mul_hi_u32 v8, v4, v8
	v_add_u32_e32 v4, v4, v8
	v_mul_hi_u32 v4, v5, v4
	v_mul_lo_u32 v8, v4, s24
	v_add_u32_e32 v9, 1, v4
	v_sub_u32_e32 v8, v5, v8
	v_subrev_u32_e32 v10, s24, v8
	v_cmp_le_u32_e32 vcc, s24, v8
	v_cndmask_b32_e32 v8, v8, v10, vcc
	v_cndmask_b32_e32 v4, v4, v9, vcc
	v_add_u32_e32 v9, 1, v4
	v_cmp_le_u32_e32 vcc, s24, v8
	v_cndmask_b32_e32 v84, v4, v9, vcc
.LBB0_6:                                ;   in Loop: Header=BB0_2 Depth=1
	s_or_b64 exec, exec, s[0:1]
	v_mul_lo_u32 v4, v85, s24
	v_mul_lo_u32 v10, v84, s25
	v_mad_u64_u32 v[8:9], s[0:1], v84, s24, 0
	s_load_dwordx2 s[0:1], s[6:7], 0x0
	s_load_dwordx2 s[24:25], s[2:3], 0x0
	v_add3_u32 v4, v9, v10, v4
	v_sub_co_u32_e32 v5, vcc, v5, v8
	v_subb_co_u32_e32 v4, vcc, v6, v4, vcc
	s_waitcnt lgkmcnt(0)
	v_mul_lo_u32 v6, s0, v4
	v_mul_lo_u32 v8, s1, v5
	v_mad_u64_u32 v[1:2], s[0:1], s0, v5, v[1:2]
	v_mul_lo_u32 v4, s24, v4
	v_mul_lo_u32 v9, s25, v5
	v_mad_u64_u32 v[80:81], s[0:1], s24, v5, v[80:81]
	s_add_u32 s22, s22, 1
	s_addc_u32 s23, s23, 0
	s_add_u32 s2, s2, 8
	v_add3_u32 v81, v9, v81, v4
	s_addc_u32 s3, s3, 0
	v_mov_b32_e32 v4, s14
	s_add_u32 s6, s6, 8
	v_mov_b32_e32 v5, s15
	s_addc_u32 s7, s7, 0
	v_cmp_ge_u64_e32 vcc, s[22:23], v[4:5]
	s_add_u32 s20, s20, 8
	v_add3_u32 v2, v8, v2, v6
	s_addc_u32 s21, s21, 0
	s_cbranch_vccnz .LBB0_9
; %bb.7:                                ;   in Loop: Header=BB0_2 Depth=1
	v_mov_b32_e32 v5, v84
	v_mov_b32_e32 v6, v85
	s_branch .LBB0_2
.LBB0_8:
	v_mov_b32_e32 v81, v2
	v_mov_b32_e32 v85, v6
	;; [unrolled: 1-line block ×4, first 2 shown]
.LBB0_9:
	s_load_dwordx2 s[4:5], s[4:5], 0x28
	s_lshl_b64 s[6:7], s[14:15], 3
	s_add_u32 s2, s18, s6
	s_addc_u32 s3, s19, s7
	v_and_b32_e32 v82, 15, v0
	s_waitcnt lgkmcnt(0)
	v_cmp_gt_u64_e64 s[0:1], s[4:5], v[84:85]
	v_cmp_le_u64_e32 vcc, s[4:5], v[84:85]
                                        ; implicit-def: $vgpr4_vgpr5
	s_and_saveexec_b64 s[4:5], vcc
	s_xor_b64 s[4:5], exec, s[4:5]
; %bb.10:
	v_and_b32_e32 v82, 15, v0
	v_mov_b32_e32 v83, 0
	v_mov_b32_e32 v4, v82
	;; [unrolled: 1-line block ×3, first 2 shown]
                                        ; implicit-def: $vgpr1_vgpr2
; %bb.11:
	s_or_saveexec_b64 s[4:5], s[4:5]
	s_load_dwordx2 s[2:3], s[2:3], 0x0
	v_mul_u32_u24_e32 v0, 0x141, v7
	v_lshlrev_b32_e32 v104, 4, v0
                                        ; implicit-def: $vgpr86
	s_xor_b64 exec, exec, s[4:5]
	s_cbranch_execz .LBB0_15
; %bb.12:
	s_add_u32 s6, s16, s6
	s_addc_u32 s7, s17, s7
	s_load_dwordx2 s[6:7], s[6:7], 0x0
	v_lshlrev_b64 v[5:6], 4, v[1:2]
	v_mov_b32_e32 v9, s9
	v_mov_b32_e32 v83, 0
	s_waitcnt lgkmcnt(0)
	v_mul_lo_u32 v7, s7, v84
	v_mul_lo_u32 v8, s6, v85
	v_mad_u64_u32 v[3:4], s[6:7], s6, v84, 0
	v_add3_u32 v4, v4, v8, v7
	v_lshlrev_b64 v[1:2], 4, v[3:4]
	v_add_co_u32_e32 v1, vcc, s8, v1
	v_addc_co_u32_e32 v3, vcc, v9, v2, vcc
	v_add_co_u32_e32 v2, vcc, v1, v5
	v_addc_co_u32_e32 v1, vcc, v3, v6, vcc
	v_lshlrev_b32_e32 v3, 4, v82
	v_add_co_u32_e32 v64, vcc, v2, v3
	v_addc_co_u32_e32 v65, vcc, 0, v1, vcc
	v_or_b32_e32 v68, 0x1000, v3
	v_add_co_u32_e32 v90, vcc, v2, v68
	v_addc_co_u32_e32 v91, vcc, 0, v1, vcc
	v_or_b32_e32 v68, 0x1100, v3
	v_add_co_u32_e32 v92, vcc, v2, v68
	v_or_b32_e32 v69, 0x1200, v3
	v_addc_co_u32_e32 v93, vcc, 0, v1, vcc
	v_add_co_u32_e32 v94, vcc, v2, v69
	v_or_b32_e32 v70, 0x1300, v3
	v_addc_co_u32_e32 v95, vcc, 0, v1, vcc
	v_add_co_u32_e32 v96, vcc, v2, v70
	global_load_dwordx4 v[4:7], v[64:65], off
	global_load_dwordx4 v[8:11], v[64:65], off offset:256
	global_load_dwordx4 v[12:15], v[64:65], off offset:512
	;; [unrolled: 1-line block ×14, first 2 shown]
	s_nop 0
	global_load_dwordx4 v[64:67], v[64:65], off offset:3840
	v_addc_co_u32_e32 v97, vcc, 0, v1, vcc
	global_load_dwordx4 v[68:71], v[90:91], off
	global_load_dwordx4 v[72:75], v[92:93], off
	;; [unrolled: 1-line block ×4, first 2 shown]
	v_add3_u32 v3, 0, v104, v3
	v_cmp_eq_u32_e32 vcc, 15, v82
	s_waitcnt vmcnt(19)
	ds_write_b128 v3, v[4:7]
	s_waitcnt vmcnt(18)
	ds_write_b128 v3, v[8:11] offset:256
	s_waitcnt vmcnt(17)
	ds_write_b128 v3, v[12:15] offset:512
	;; [unrolled: 2-line block ×19, first 2 shown]
	v_mov_b32_e32 v4, v82
	v_mov_b32_e32 v5, v83
	s_and_saveexec_b64 s[6:7], vcc
	s_cbranch_execz .LBB0_14
; %bb.13:
	v_add_co_u32_e32 v4, vcc, 0x1000, v2
	v_addc_co_u32_e32 v5, vcc, 0, v1, vcc
	global_load_dwordx4 v[6:9], v[4:5], off offset:1024
	v_mov_b32_e32 v4, 15
	v_mov_b32_e32 v5, 0
	;; [unrolled: 1-line block ×3, first 2 shown]
	s_waitcnt vmcnt(0)
	ds_write_b128 v3, v[6:9] offset:4880
.LBB0_14:
	s_or_b64 exec, exec, s[6:7]
	v_mov_b32_e32 v86, v82
.LBB0_15:
	s_or_b64 exec, exec, s[4:5]
	v_lshl_add_u32 v103, v0, 4, 0
	v_lshlrev_b32_e32 v10, 4, v82
	v_add_u32_e32 v105, v103, v10
	s_waitcnt lgkmcnt(0)
	; wave barrier
	s_waitcnt lgkmcnt(0)
	v_sub_u32_e32 v11, v103, v10
	ds_read_b64 v[6:7], v105
	ds_read_b64 v[8:9], v11 offset:5120
	s_add_u32 s7, s12, 0x1360
	v_lshlrev_b64 v[87:88], 4, v[4:5]
	s_addc_u32 s6, s13, 0
	v_cmp_ne_u32_e32 vcc, 0, v82
	s_waitcnt lgkmcnt(0)
	v_add_f64 v[0:1], v[6:7], v[8:9]
	v_add_f64 v[2:3], v[6:7], -v[8:9]
	s_and_saveexec_b64 s[4:5], vcc
	s_xor_b64 s[4:5], exec, s[4:5]
	s_cbranch_execz .LBB0_17
; %bb.16:
	v_mov_b32_e32 v1, s6
	v_add_co_u32_e32 v0, vcc, s7, v87
	v_addc_co_u32_e32 v1, vcc, v1, v88, vcc
	global_load_dwordx4 v[2:5], v[0:1], off
	ds_read_b64 v[0:1], v11 offset:5128
	ds_read_b64 v[12:13], v105 offset:8
	v_add_f64 v[14:15], v[6:7], v[8:9]
	v_add_f64 v[8:9], v[6:7], -v[8:9]
	s_waitcnt lgkmcnt(0)
	v_add_f64 v[16:17], v[0:1], v[12:13]
	v_add_f64 v[0:1], v[12:13], -v[0:1]
	s_waitcnt vmcnt(0)
	v_fma_f64 v[6:7], -v[8:9], v[4:5], v[14:15]
	v_fma_f64 v[12:13], v[16:17], v[4:5], -v[0:1]
	v_fma_f64 v[14:15], v[8:9], v[4:5], v[14:15]
	v_fma_f64 v[18:19], v[16:17], v[4:5], v[0:1]
	;; [unrolled: 1-line block ×4, first 2 shown]
	v_fma_f64 v[0:1], -v[16:17], v[2:3], v[14:15]
	v_fma_f64 v[2:3], v[8:9], v[2:3], v[18:19]
	ds_write_b128 v11, v[4:7] offset:5120
.LBB0_17:
	s_andn2_saveexec_b64 s[4:5], s[4:5]
	s_cbranch_execz .LBB0_19
; %bb.18:
	ds_read_b128 v[4:7], v103 offset:2560
	s_waitcnt lgkmcnt(0)
	v_add_f64 v[4:5], v[4:5], v[4:5]
	v_mul_f64 v[6:7], v[6:7], -2.0
	ds_write_b128 v103, v[4:7] offset:2560
.LBB0_19:
	s_or_b64 exec, exec, s[4:5]
	ds_write_b128 v105, v[0:3]
	ds_read_b128 v[0:3], v105 offset:256
	ds_read_b128 v[4:7], v11 offset:4864
	v_mov_b32_e32 v83, 0
	v_lshlrev_b64 v[89:90], 4, v[82:83]
	v_add3_u32 v107, 0, v10, v104
	s_mov_b32 s14, 0x134454ff
	s_waitcnt lgkmcnt(0)
	v_add_f64 v[12:13], v[0:1], v[4:5]
	v_add_f64 v[16:17], v[0:1], -v[4:5]
	v_add_co_u32_e32 v0, vcc, s7, v89
	v_mov_b32_e32 v1, s6
	v_addc_co_u32_e32 v1, vcc, v1, v90, vcc
	v_add_f64 v[14:15], v[6:7], v[2:3]
	v_add_f64 v[18:19], v[2:3], -v[6:7]
	global_load_dwordx4 v[2:5], v[0:1], off offset:256
	s_mov_b32 s15, 0xbfee6f0e
	s_mov_b32 s7, 0x3fee6f0e
	;; [unrolled: 1-line block ×15, first 2 shown]
	v_cmp_gt_u32_e32 vcc, 10, v82
	v_or_b32_e32 v106, 32, v82
	s_waitcnt vmcnt(0)
	v_fma_f64 v[6:7], v[16:17], v[4:5], v[12:13]
	v_fma_f64 v[8:9], v[14:15], v[4:5], v[18:19]
	v_fma_f64 v[6:7], -v[14:15], v[2:3], v[6:7]
	v_fma_f64 v[8:9], v[16:17], v[2:3], v[8:9]
	ds_write_b128 v105, v[6:9] offset:256
	v_fma_f64 v[6:7], -v[16:17], v[4:5], v[12:13]
	v_fma_f64 v[4:5], v[14:15], v[4:5], -v[18:19]
	v_fma_f64 v[6:7], v[14:15], v[2:3], v[6:7]
	v_fma_f64 v[8:9], v[16:17], v[2:3], v[4:5]
	ds_write_b128 v11, v[6:9] offset:4864
	ds_read_b128 v[2:5], v105 offset:512
	ds_read_b128 v[6:9], v11 offset:4608
	s_waitcnt lgkmcnt(0)
	v_add_f64 v[12:13], v[2:3], v[6:7]
	v_add_f64 v[14:15], v[8:9], v[4:5]
	v_add_f64 v[16:17], v[2:3], -v[6:7]
	v_add_f64 v[18:19], v[4:5], -v[8:9]
	global_load_dwordx4 v[2:5], v[0:1], off offset:512
	s_waitcnt vmcnt(0)
	v_fma_f64 v[6:7], v[16:17], v[4:5], v[12:13]
	v_fma_f64 v[8:9], v[14:15], v[4:5], v[18:19]
	v_fma_f64 v[6:7], -v[14:15], v[2:3], v[6:7]
	v_fma_f64 v[8:9], v[16:17], v[2:3], v[8:9]
	ds_write_b128 v105, v[6:9] offset:512
	v_fma_f64 v[6:7], -v[16:17], v[4:5], v[12:13]
	v_fma_f64 v[4:5], v[14:15], v[4:5], -v[18:19]
	v_fma_f64 v[6:7], v[14:15], v[2:3], v[6:7]
	v_fma_f64 v[8:9], v[16:17], v[2:3], v[4:5]
	ds_write_b128 v11, v[6:9] offset:4608
	ds_read_b128 v[2:5], v105 offset:768
	ds_read_b128 v[6:9], v11 offset:4352
	s_waitcnt lgkmcnt(0)
	v_add_f64 v[12:13], v[2:3], v[6:7]
	v_add_f64 v[14:15], v[8:9], v[4:5]
	v_add_f64 v[16:17], v[2:3], -v[6:7]
	v_add_f64 v[18:19], v[4:5], -v[8:9]
	global_load_dwordx4 v[2:5], v[0:1], off offset:768
	;; [unrolled: 19-line block ×7, first 2 shown]
	s_waitcnt vmcnt(0)
	v_fma_f64 v[6:7], v[16:17], v[4:5], v[12:13]
	v_fma_f64 v[8:9], v[14:15], v[4:5], v[18:19]
	v_fma_f64 v[6:7], -v[14:15], v[2:3], v[6:7]
	v_fma_f64 v[8:9], v[16:17], v[2:3], v[8:9]
	ds_write_b128 v105, v[6:9] offset:2048
	v_fma_f64 v[6:7], -v[16:17], v[4:5], v[12:13]
	v_fma_f64 v[4:5], v[14:15], v[4:5], -v[18:19]
	v_fma_f64 v[6:7], v[14:15], v[2:3], v[6:7]
	v_fma_f64 v[8:9], v[16:17], v[2:3], v[4:5]
	ds_write_b128 v11, v[6:9] offset:3072
	ds_read_b128 v[2:5], v105 offset:2304
	ds_read_b128 v[6:9], v11 offset:2816
	s_waitcnt lgkmcnt(0)
	v_add_f64 v[12:13], v[2:3], v[6:7]
	v_add_f64 v[16:17], v[2:3], -v[6:7]
	global_load_dwordx4 v[0:3], v[0:1], off offset:2304
	v_add_f64 v[14:15], v[8:9], v[4:5]
	v_add_f64 v[8:9], v[4:5], -v[8:9]
	s_waitcnt vmcnt(0)
	v_fma_f64 v[4:5], v[16:17], v[2:3], v[12:13]
	v_fma_f64 v[6:7], v[14:15], v[2:3], v[8:9]
	v_fma_f64 v[4:5], -v[14:15], v[0:1], v[4:5]
	v_fma_f64 v[6:7], v[16:17], v[0:1], v[6:7]
	ds_write_b128 v105, v[4:7] offset:2304
	v_fma_f64 v[4:5], -v[16:17], v[2:3], v[12:13]
	v_fma_f64 v[2:3], v[14:15], v[2:3], -v[8:9]
	v_fma_f64 v[4:5], v[14:15], v[0:1], v[4:5]
	v_fma_f64 v[6:7], v[16:17], v[0:1], v[2:3]
	ds_write_b128 v11, v[4:7] offset:2816
	s_waitcnt lgkmcnt(0)
	; wave barrier
	s_waitcnt lgkmcnt(0)
	s_waitcnt lgkmcnt(0)
	; wave barrier
	s_waitcnt lgkmcnt(0)
	ds_read_b128 v[50:53], v105
	ds_read_b128 v[36:39], v107 offset:512
	ds_read_b128 v[54:57], v107 offset:1024
	;; [unrolled: 1-line block ×19, first 2 shown]
	s_waitcnt lgkmcnt(13)
	v_add_f64 v[42:43], v[91:92], v[95:96]
	s_waitcnt lgkmcnt(11)
	v_add_f64 v[48:49], v[56:57], -v[101:102]
	v_add_f64 v[58:59], v[93:94], -v[97:98]
	;; [unrolled: 1-line block ×4, first 2 shown]
	v_add_f64 v[40:41], v[50:51], v[54:55]
	v_add_f64 v[110:111], v[95:96], -v[99:100]
	s_waitcnt lgkmcnt(0)
	v_fma_f64 v[44:45], v[42:43], -0.5, v[50:51]
	; wave barrier
	v_add_f64 v[46:47], v[46:47], v[108:109]
	v_add_f64 v[108:109], v[91:92], -v[54:55]
	v_add_f64 v[40:41], v[40:41], v[91:92]
	v_add_f64 v[91:92], v[91:92], -v[95:96]
	v_fma_f64 v[42:43], v[48:49], s[14:15], v[44:45]
	v_fma_f64 v[44:45], v[48:49], s[6:7], v[44:45]
	v_add_f64 v[108:109], v[108:109], v[110:111]
	v_add_f64 v[40:41], v[40:41], v[95:96]
	v_add_f64 v[110:111], v[20:21], -v[32:33]
	v_fma_f64 v[42:43], v[58:59], s[16:17], v[42:43]
	v_fma_f64 v[44:45], v[58:59], s[4:5], v[44:45]
	v_add_f64 v[40:41], v[40:41], v[99:100]
	v_fma_f64 v[42:43], v[46:47], s[8:9], v[42:43]
	v_fma_f64 v[46:47], v[46:47], s[8:9], v[44:45]
	v_add_f64 v[44:45], v[54:55], v[99:100]
	v_add_f64 v[54:55], v[54:55], -v[99:100]
	v_fma_f64 v[50:51], v[44:45], -0.5, v[50:51]
	v_fma_f64 v[44:45], v[58:59], s[6:7], v[50:51]
	v_fma_f64 v[50:51], v[58:59], s[14:15], v[50:51]
	;; [unrolled: 1-line block ×6, first 2 shown]
	v_add_f64 v[48:49], v[52:53], v[56:57]
	v_add_f64 v[108:109], v[101:102], -v[97:98]
	v_add_f64 v[48:49], v[48:49], v[93:94]
	v_add_f64 v[48:49], v[48:49], v[97:98]
	;; [unrolled: 1-line block ×4, first 2 shown]
	v_fma_f64 v[48:49], v[48:49], -0.5, v[52:53]
	v_fma_f64 v[99:100], v[54:55], s[6:7], v[48:49]
	v_fma_f64 v[48:49], v[54:55], s[14:15], v[48:49]
	;; [unrolled: 1-line block ×3, first 2 shown]
	v_add_f64 v[99:100], v[56:57], -v[93:94]
	v_fma_f64 v[48:49], v[91:92], s[16:17], v[48:49]
	v_add_f64 v[99:100], v[99:100], v[108:109]
	v_add_f64 v[108:109], v[32:33], -v[20:21]
	v_fma_f64 v[95:96], v[99:100], s[8:9], v[95:96]
	v_fma_f64 v[99:100], v[99:100], s[8:9], v[48:49]
	v_add_f64 v[48:49], v[56:57], v[101:102]
	v_add_f64 v[56:57], v[93:94], -v[56:57]
	v_add_f64 v[93:94], v[97:98], -v[101:102]
	;; [unrolled: 1-line block ×4, first 2 shown]
	v_fma_f64 v[48:49], v[48:49], -0.5, v[52:53]
	v_add_f64 v[56:57], v[56:57], v[93:94]
	v_add_f64 v[101:102], v[101:102], v[108:109]
	v_add_f64 v[108:109], v[28:29], -v[24:25]
	v_fma_f64 v[52:53], v[91:92], s[14:15], v[48:49]
	v_fma_f64 v[48:49], v[91:92], s[6:7], v[48:49]
	v_add_f64 v[108:109], v[108:109], v[110:111]
	v_fma_f64 v[52:53], v[54:55], s[4:5], v[52:53]
	v_fma_f64 v[48:49], v[54:55], s[16:17], v[48:49]
	v_add_f64 v[54:55], v[26:27], -v[34:35]
	v_fma_f64 v[93:94], v[56:57], s[8:9], v[52:53]
	v_add_f64 v[52:53], v[28:29], v[20:21]
	v_fma_f64 v[91:92], v[56:57], s[8:9], v[48:49]
	v_add_f64 v[48:49], v[36:37], v[24:25]
	v_fma_f64 v[52:53], v[52:53], -0.5, v[36:37]
	v_add_f64 v[48:49], v[48:49], v[28:29]
	v_fma_f64 v[56:57], v[54:55], s[14:15], v[52:53]
	v_fma_f64 v[52:53], v[54:55], s[6:7], v[52:53]
	v_add_f64 v[48:49], v[48:49], v[20:21]
	v_add_f64 v[20:21], v[28:29], -v[20:21]
	v_fma_f64 v[56:57], v[97:98], s[16:17], v[56:57]
	v_fma_f64 v[52:53], v[97:98], s[4:5], v[52:53]
	v_add_f64 v[48:49], v[48:49], v[32:33]
	v_fma_f64 v[56:57], v[101:102], s[8:9], v[56:57]
	v_fma_f64 v[52:53], v[101:102], s[8:9], v[52:53]
	v_add_f64 v[101:102], v[24:25], v[32:33]
	v_add_f64 v[24:25], v[24:25], -v[32:33]
	v_fma_f64 v[36:37], v[101:102], -0.5, v[36:37]
	v_fma_f64 v[101:102], v[97:98], s[6:7], v[36:37]
	v_fma_f64 v[36:37], v[97:98], s[14:15], v[36:37]
	;; [unrolled: 1-line block ×6, first 2 shown]
	v_add_f64 v[36:37], v[38:39], v[26:27]
	v_add_f64 v[108:109], v[34:35], -v[22:23]
	v_add_f64 v[36:37], v[36:37], v[30:31]
	v_add_f64 v[36:37], v[36:37], v[22:23]
	;; [unrolled: 1-line block ×4, first 2 shown]
	v_add_f64 v[22:23], v[22:23], -v[34:35]
	v_fma_f64 v[36:37], v[36:37], -0.5, v[38:39]
	v_fma_f64 v[32:33], v[24:25], s[6:7], v[36:37]
	v_fma_f64 v[28:29], v[20:21], s[4:5], v[32:33]
	v_add_f64 v[32:33], v[26:27], -v[30:31]
	v_add_f64 v[32:33], v[32:33], v[108:109]
	v_fma_f64 v[108:109], v[32:33], s[8:9], v[28:29]
	v_fma_f64 v[28:29], v[24:25], s[14:15], v[36:37]
	v_add_f64 v[36:37], v[40:41], v[48:49]
	v_fma_f64 v[28:29], v[20:21], s[16:17], v[28:29]
	v_fma_f64 v[110:111], v[32:33], s[8:9], v[28:29]
	v_add_f64 v[28:29], v[26:27], v[34:35]
	v_add_f64 v[26:27], v[30:31], -v[26:27]
	v_mul_f64 v[30:31], v[56:57], s[4:5]
	v_fma_f64 v[28:29], v[28:29], -0.5, v[38:39]
	v_add_f64 v[22:23], v[26:27], v[22:23]
	v_add_f64 v[38:39], v[58:59], v[97:98]
	v_add_f64 v[58:59], v[58:59], -v[97:98]
	v_add_f64 v[97:98], v[66:67], -v[78:79]
	v_fma_f64 v[32:33], v[20:21], s[14:15], v[28:29]
	v_fma_f64 v[20:21], v[20:21], s[6:7], v[28:29]
	;; [unrolled: 1-line block ×6, first 2 shown]
	v_mul_f64 v[20:21], v[108:109], s[16:17]
	v_fma_f64 v[108:109], v[108:109], s[22:23], v[30:31]
	v_fma_f64 v[112:113], v[56:57], s[22:23], v[20:21]
	v_mul_f64 v[20:21], v[26:27], s[14:15]
	v_mul_f64 v[26:27], v[26:27], s[8:9]
	v_add_f64 v[56:57], v[40:41], -v[48:49]
	v_add_f64 v[34:35], v[95:96], v[108:109]
	v_add_f64 v[32:33], v[42:43], v[112:113]
	v_fma_f64 v[114:115], v[101:102], s[8:9], v[20:21]
	v_mul_f64 v[20:21], v[22:23], s[14:15]
	v_fma_f64 v[101:102], v[101:102], s[6:7], v[26:27]
	v_mul_f64 v[22:23], v[22:23], s[18:19]
	v_add_f64 v[28:29], v[44:45], v[114:115]
	v_fma_f64 v[116:117], v[54:55], s[18:19], v[20:21]
	v_add_f64 v[30:31], v[93:94], v[101:102]
	v_fma_f64 v[120:121], v[54:55], s[6:7], v[22:23]
	v_mul_f64 v[22:23], v[110:111], s[20:21]
	v_add_f64 v[48:49], v[44:45], -v[114:115]
	v_mul_f64 v[20:21], v[110:111], s[16:17]
	v_add_f64 v[54:55], v[95:96], -v[108:109]
	v_add_f64 v[108:109], v[76:77], -v[72:73]
	v_add_f64 v[24:25], v[50:51], v[116:117]
	v_add_f64 v[44:45], v[50:51], -v[116:117]
	v_add_f64 v[50:51], v[93:94], -v[101:102]
	v_add_f64 v[93:94], v[68:69], v[72:73]
	v_fma_f64 v[110:111], v[52:53], s[4:5], v[22:23]
	v_fma_f64 v[118:119], v[52:53], s[20:21], v[20:21]
	v_add_f64 v[52:53], v[42:43], -v[112:113]
	v_add_f64 v[101:102], v[70:71], -v[74:75]
	v_add_f64 v[26:27], v[91:92], v[120:121]
	v_fma_f64 v[95:96], v[93:94], -0.5, v[60:61]
	v_add_f64 v[22:23], v[99:100], v[110:111]
	v_add_f64 v[42:43], v[99:100], -v[110:111]
	v_add_f64 v[99:100], v[64:65], -v[68:69]
	v_add_f64 v[20:21], v[46:47], v[118:119]
	v_add_f64 v[40:41], v[46:47], -v[118:119]
	v_add_f64 v[46:47], v[91:92], -v[120:121]
	v_add_f64 v[91:92], v[60:61], v[64:65]
	v_fma_f64 v[93:94], v[97:98], s[14:15], v[95:96]
	v_fma_f64 v[95:96], v[97:98], s[6:7], v[95:96]
	v_add_f64 v[110:111], v[72:73], -v[76:77]
	v_add_f64 v[99:100], v[99:100], v[108:109]
	v_add_f64 v[108:109], v[68:69], -v[64:65]
	v_mov_b32_e32 v120, 3
	v_add_f64 v[91:92], v[91:92], v[68:69]
	v_fma_f64 v[93:94], v[101:102], s[16:17], v[93:94]
	v_fma_f64 v[95:96], v[101:102], s[4:5], v[95:96]
	v_add_f64 v[108:109], v[108:109], v[110:111]
	v_add_f64 v[110:111], v[0:1], -v[4:5]
	v_add_f64 v[91:92], v[91:92], v[72:73]
	v_fma_f64 v[93:94], v[99:100], s[8:9], v[93:94]
	v_fma_f64 v[95:96], v[99:100], s[8:9], v[95:96]
	v_add_f64 v[99:100], v[64:65], v[76:77]
	v_add_f64 v[72:73], v[68:69], -v[72:73]
	v_add_f64 v[68:69], v[66:67], -v[70:71]
	v_add_f64 v[91:92], v[91:92], v[76:77]
	v_add_f64 v[76:77], v[64:65], -v[76:77]
	v_fma_f64 v[60:61], v[99:100], -0.5, v[60:61]
	v_fma_f64 v[99:100], v[101:102], s[6:7], v[60:61]
	v_fma_f64 v[60:61], v[101:102], s[14:15], v[60:61]
	;; [unrolled: 1-line block ×6, first 2 shown]
	v_add_f64 v[60:61], v[62:63], v[66:67]
	v_add_f64 v[108:109], v[78:79], -v[74:75]
	v_add_f64 v[60:61], v[60:61], v[70:71]
	v_add_f64 v[108:109], v[68:69], v[108:109]
	;; [unrolled: 1-line block ×5, first 2 shown]
	v_fma_f64 v[60:61], v[60:61], -0.5, v[62:63]
	v_fma_f64 v[64:65], v[76:77], s[6:7], v[60:61]
	v_fma_f64 v[60:61], v[76:77], s[14:15], v[60:61]
	;; [unrolled: 1-line block ×5, first 2 shown]
	v_add_f64 v[64:65], v[66:67], v[78:79]
	v_add_f64 v[66:67], v[70:71], -v[66:67]
	v_add_f64 v[70:71], v[74:75], -v[78:79]
	;; [unrolled: 1-line block ×3, first 2 shown]
	v_fma_f64 v[60:61], v[108:109], s[8:9], v[60:61]
	v_add_f64 v[78:79], v[8:9], -v[12:13]
	v_add_f64 v[108:109], v[4:5], -v[0:1]
	v_fma_f64 v[62:63], v[64:65], -0.5, v[62:63]
	v_add_f64 v[66:67], v[66:67], v[70:71]
	v_add_f64 v[70:71], v[12:13], v[0:1]
	;; [unrolled: 1-line block ×3, first 2 shown]
	v_add_f64 v[108:109], v[12:13], -v[8:9]
	v_fma_f64 v[64:65], v[72:73], s[14:15], v[62:63]
	v_fma_f64 v[62:63], v[72:73], s[6:7], v[62:63]
	v_fma_f64 v[70:71], v[70:71], -0.5, v[16:17]
	v_add_f64 v[108:109], v[108:109], v[110:111]
	v_fma_f64 v[64:65], v[76:77], s[4:5], v[64:65]
	v_fma_f64 v[62:63], v[76:77], s[16:17], v[62:63]
	v_add_f64 v[76:77], v[14:15], -v[2:3]
	v_fma_f64 v[72:73], v[74:75], s[14:15], v[70:71]
	v_fma_f64 v[70:71], v[74:75], s[6:7], v[70:71]
	;; [unrolled: 1-line block ×4, first 2 shown]
	v_add_f64 v[66:67], v[16:17], v[8:9]
	v_fma_f64 v[72:73], v[76:77], s[16:17], v[72:73]
	v_fma_f64 v[70:71], v[76:77], s[4:5], v[70:71]
	v_add_f64 v[66:67], v[66:67], v[12:13]
	v_fma_f64 v[72:73], v[78:79], s[8:9], v[72:73]
	v_fma_f64 v[70:71], v[78:79], s[8:9], v[70:71]
	v_add_f64 v[78:79], v[8:9], v[4:5]
	v_add_f64 v[66:67], v[66:67], v[0:1]
	v_add_f64 v[0:1], v[12:13], -v[0:1]
	v_add_f64 v[12:13], v[10:11], -v[14:15]
	v_fma_f64 v[16:17], v[78:79], -0.5, v[16:17]
	v_add_f64 v[66:67], v[66:67], v[4:5]
	v_add_f64 v[4:5], v[8:9], -v[4:5]
	v_fma_f64 v[78:79], v[76:77], s[6:7], v[16:17]
	v_fma_f64 v[16:17], v[76:77], s[14:15], v[16:17]
	v_add_f64 v[76:77], v[14:15], v[2:3]
	v_fma_f64 v[78:79], v[74:75], s[16:17], v[78:79]
	v_fma_f64 v[16:17], v[74:75], s[4:5], v[16:17]
	v_fma_f64 v[76:77], v[76:77], -0.5, v[18:19]
	v_fma_f64 v[78:79], v[108:109], s[8:9], v[78:79]
	v_fma_f64 v[74:75], v[108:109], s[8:9], v[16:17]
	;; [unrolled: 1-line block ×3, first 2 shown]
	v_add_f64 v[108:109], v[6:7], -v[2:3]
	v_add_f64 v[16:17], v[18:19], v[10:11]
	v_fma_f64 v[8:9], v[0:1], s[4:5], v[8:9]
	v_add_f64 v[12:13], v[12:13], v[108:109]
	v_add_f64 v[16:17], v[16:17], v[14:15]
	v_fma_f64 v[108:109], v[12:13], s[8:9], v[8:9]
	v_fma_f64 v[8:9], v[4:5], s[14:15], v[76:77]
	v_add_f64 v[16:17], v[16:17], v[2:3]
	v_add_f64 v[2:3], v[2:3], -v[6:7]
	v_fma_f64 v[8:9], v[0:1], s[16:17], v[8:9]
	v_add_f64 v[16:17], v[16:17], v[6:7]
	v_fma_f64 v[110:111], v[12:13], s[8:9], v[8:9]
	v_add_f64 v[8:9], v[10:11], v[6:7]
	v_add_f64 v[10:11], v[14:15], -v[10:11]
	v_mul_f64 v[6:7], v[72:73], s[4:5]
	v_fma_f64 v[8:9], v[8:9], -0.5, v[18:19]
	v_add_f64 v[2:3], v[10:11], v[2:3]
	v_fma_f64 v[12:13], v[0:1], s[14:15], v[8:9]
	v_fma_f64 v[0:1], v[0:1], s[6:7], v[8:9]
	v_fma_f64 v[12:13], v[4:5], s[4:5], v[12:13]
	v_fma_f64 v[0:1], v[4:5], s[16:17], v[0:1]
	v_fma_f64 v[10:11], v[2:3], s[8:9], v[12:13]
	v_fma_f64 v[14:15], v[2:3], s[8:9], v[0:1]
	v_mul_f64 v[2:3], v[108:109], s[16:17]
	v_fma_f64 v[108:109], v[108:109], s[22:23], v[6:7]
	v_add_f64 v[0:1], v[91:92], v[66:67]
	v_fma_f64 v[18:19], v[72:73], s[22:23], v[2:3]
	v_mul_f64 v[2:3], v[10:11], s[14:15]
	v_mul_f64 v[10:11], v[10:11], s[8:9]
	;; [unrolled: 1-line block ×3, first 2 shown]
	v_add_f64 v[6:7], v[68:69], v[108:109]
	v_add_f64 v[68:69], v[68:69], -v[108:109]
	v_add_f64 v[4:5], v[93:94], v[18:19]
	v_fma_f64 v[112:113], v[78:79], s[8:9], v[2:3]
	v_mul_f64 v[2:3], v[14:15], s[14:15]
	v_mul_f64 v[14:15], v[14:15], s[18:19]
	v_fma_f64 v[118:119], v[78:79], s[6:7], v[10:11]
	v_add_f64 v[8:9], v[99:100], v[112:113]
	v_fma_f64 v[114:115], v[74:75], s[18:19], v[2:3]
	v_mul_f64 v[2:3], v[110:111], s[16:17]
	v_fma_f64 v[74:75], v[74:75], s[6:7], v[14:15]
	v_fma_f64 v[110:111], v[70:71], s[4:5], v[72:73]
	v_add_f64 v[72:73], v[97:98], -v[16:17]
	v_add_f64 v[10:11], v[64:65], v[118:119]
	s_movk_i32 s4, 0xcd
	v_add_f64 v[12:13], v[101:102], v[114:115]
	v_fma_f64 v[116:117], v[70:71], s[20:21], v[2:3]
	v_add_f64 v[2:3], v[97:98], v[16:17]
	v_mul_u32_u24_e32 v16, 10, v82
	v_lshlrev_b32_e32 v16, 4, v16
	v_add3_u32 v16, 0, v16, v104
	v_add_f64 v[14:15], v[62:63], v[74:75]
	v_add_f64 v[78:79], v[60:61], v[110:111]
	v_add_f64 v[70:71], v[91:92], -v[66:67]
	v_add_f64 v[76:77], v[95:96], v[116:117]
	v_add_f64 v[66:67], v[93:94], -v[18:19]
	v_add_f64 v[91:92], v[99:100], -v[112:113]
	;; [unrolled: 1-line block ×7, first 2 shown]
	ds_write_b128 v16, v[36:39]
	ds_write_b128 v16, v[32:35] offset:16
	ds_write_b128 v16, v[28:31] offset:32
	;; [unrolled: 1-line block ×19, first 2 shown]
	v_add_u32_e32 v44, -10, v82
	v_cndmask_b32_e32 v57, v44, v82, vcc
	v_mul_i32_i24_e32 v44, 3, v57
	v_mov_b32_e32 v45, v83
	v_lshlrev_b64 v[44:45], 4, v[44:45]
	v_mov_b32_e32 v56, s13
	v_add_co_u32_e32 v44, vcc, s12, v44
	v_addc_co_u32_e32 v45, vcc, v56, v45, vcc
	s_waitcnt lgkmcnt(0)
	; wave barrier
	s_waitcnt lgkmcnt(0)
	ds_read_b128 v[16:19], v105
	ds_read_b128 v[46:49], v107 offset:1280
	ds_read_b128 v[58:61], v107 offset:2560
	ds_read_b128 v[62:65], v107 offset:3840
	ds_read_b128 v[12:15], v107 offset:256
	ds_read_b128 v[66:69], v107 offset:1536
	ds_read_b128 v[70:73], v107 offset:2816
	ds_read_b128 v[74:77], v107 offset:4096
	ds_read_b128 v[8:11], v107 offset:512
	ds_read_b128 v[91:94], v107 offset:1792
	ds_read_b128 v[95:98], v107 offset:3072
	ds_read_b128 v[99:102], v107 offset:4352
	ds_read_b128 v[4:7], v107 offset:768
	ds_read_b128 v[40:43], v107 offset:2048
	ds_read_b128 v[36:39], v107 offset:3328
	ds_read_b128 v[32:35], v107 offset:4608
	ds_read_b128 v[0:3], v107 offset:1024
	ds_read_b128 v[28:31], v107 offset:2304
	ds_read_b128 v[24:27], v107 offset:3584
	ds_read_b128 v[20:23], v107 offset:4864
	global_load_dwordx4 v[108:111], v[44:45], off offset:32
	global_load_dwordx4 v[112:115], v[44:45], off offset:16
	global_load_dwordx4 v[50:53], v[44:45], off
	v_cmp_lt_u32_e32 vcc, 9, v82
	s_waitcnt vmcnt(0) lgkmcnt(14)
	v_mul_f64 v[44:45], v[48:49], v[52:53]
	v_fma_f64 v[44:45], v[46:47], v[50:51], v[44:45]
	v_mul_f64 v[46:47], v[46:47], v[52:53]
	v_fma_f64 v[46:47], v[48:49], v[50:51], -v[46:47]
	v_mul_f64 v[48:49], v[60:61], v[114:115]
	v_mul_f64 v[50:51], v[62:63], v[110:111]
	v_fma_f64 v[52:53], v[58:59], v[112:113], v[48:49]
	v_mul_f64 v[48:49], v[58:59], v[114:115]
	v_or_b32_e32 v59, 16, v82
	v_mul_lo_u16_sdwa v58, v59, s4 dst_sel:DWORD dst_unused:UNUSED_PAD src0_sel:BYTE_0 src1_sel:DWORD
	v_lshrrev_b16_e32 v58, 11, v58
	v_fma_f64 v[50:51], v[64:65], v[108:109], -v[50:51]
	v_fma_f64 v[54:55], v[60:61], v[112:113], -v[48:49]
	v_mul_f64 v[48:49], v[64:65], v[110:111]
	v_mul_lo_u16_e32 v60, 10, v58
	v_sub_u16_e32 v59, v59, v60
	v_mul_u32_u24_sdwa v60, v59, v120 dst_sel:DWORD dst_unused:UNUSED_PAD src0_sel:BYTE_0 src1_sel:DWORD
	v_lshlrev_b32_e32 v64, 4, v60
	v_fma_f64 v[48:49], v[62:63], v[108:109], v[48:49]
	global_load_dwordx4 v[60:63], v64, s[12:13] offset:32
	global_load_dwordx4 v[108:111], v64, s[12:13] offset:16
	global_load_dwordx4 v[112:115], v64, s[12:13]
	s_waitcnt vmcnt(0)
	v_mul_f64 v[64:65], v[68:69], v[114:115]
	v_fma_f64 v[78:79], v[66:67], v[112:113], v[64:65]
	v_mul_f64 v[64:65], v[66:67], v[114:115]
	v_fma_f64 v[112:113], v[68:69], v[112:113], -v[64:65]
	s_waitcnt lgkmcnt(13)
	v_mul_f64 v[64:65], v[72:73], v[110:111]
	v_fma_f64 v[114:115], v[70:71], v[108:109], v[64:65]
	v_mul_f64 v[64:65], v[70:71], v[110:111]
	v_fma_f64 v[108:109], v[72:73], v[108:109], -v[64:65]
	s_waitcnt lgkmcnt(12)
	v_mul_f64 v[64:65], v[76:77], v[62:63]
	v_mul_f64 v[62:63], v[74:75], v[62:63]
	v_fma_f64 v[110:111], v[74:75], v[60:61], v[64:65]
	v_fma_f64 v[76:77], v[76:77], v[60:61], -v[62:63]
	v_mul_lo_u16_sdwa v60, v106, s4 dst_sel:DWORD dst_unused:UNUSED_PAD src0_sel:BYTE_0 src1_sel:DWORD
	v_lshrrev_b16_e32 v60, 11, v60
	v_mul_lo_u16_e32 v61, 10, v60
	v_sub_u16_e32 v61, v106, v61
	v_mul_u32_u24_sdwa v62, v61, v120 dst_sel:DWORD dst_unused:UNUSED_PAD src0_sel:BYTE_0 src1_sel:DWORD
	v_lshlrev_b32_e32 v74, 4, v62
	global_load_dwordx4 v[62:65], v74, s[12:13] offset:32
	global_load_dwordx4 v[66:69], v74, s[12:13] offset:16
	global_load_dwordx4 v[70:73], v74, s[12:13]
	s_waitcnt vmcnt(0) lgkmcnt(10)
	v_mul_f64 v[74:75], v[93:94], v[72:73]
	v_mul_f64 v[72:73], v[91:92], v[72:73]
	v_fma_f64 v[116:117], v[91:92], v[70:71], v[74:75]
	v_fma_f64 v[91:92], v[93:94], v[70:71], -v[72:73]
	s_waitcnt lgkmcnt(9)
	v_mul_f64 v[70:71], v[97:98], v[68:69]
	v_mul_f64 v[68:69], v[95:96], v[68:69]
	v_fma_f64 v[93:94], v[95:96], v[66:67], v[70:71]
	v_fma_f64 v[95:96], v[97:98], v[66:67], -v[68:69]
	s_waitcnt lgkmcnt(8)
	v_mul_f64 v[66:67], v[101:102], v[64:65]
	v_mul_f64 v[64:65], v[99:100], v[64:65]
	v_fma_f64 v[97:98], v[99:100], v[62:63], v[66:67]
	v_fma_f64 v[99:100], v[101:102], v[62:63], -v[64:65]
	v_or_b32_e32 v63, 48, v82
	v_mul_lo_u16_sdwa v62, v63, s4 dst_sel:DWORD dst_unused:UNUSED_PAD src0_sel:BYTE_0 src1_sel:DWORD
	v_lshrrev_b16_e32 v62, 11, v62
	v_mul_lo_u16_e32 v64, 10, v62
	v_sub_u16_e32 v63, v63, v64
	v_mul_u32_u24_sdwa v64, v63, v120 dst_sel:DWORD dst_unused:UNUSED_PAD src0_sel:BYTE_0 src1_sel:DWORD
	v_lshlrev_b32_e32 v101, 4, v64
	global_load_dwordx4 v[64:67], v101, s[12:13] offset:32
	global_load_dwordx4 v[68:71], v101, s[12:13] offset:16
	global_load_dwordx4 v[72:75], v101, s[12:13]
	s_waitcnt vmcnt(0) lgkmcnt(6)
	v_mul_f64 v[101:102], v[42:43], v[74:75]
	v_fma_f64 v[101:102], v[40:41], v[72:73], v[101:102]
	v_mul_f64 v[40:41], v[40:41], v[74:75]
	v_fma_f64 v[72:73], v[42:43], v[72:73], -v[40:41]
	s_waitcnt lgkmcnt(5)
	v_mul_f64 v[40:41], v[38:39], v[70:71]
	v_fma_f64 v[74:75], v[36:37], v[68:69], v[40:41]
	v_mul_f64 v[36:37], v[36:37], v[70:71]
	v_fma_f64 v[68:69], v[38:39], v[68:69], -v[36:37]
	s_waitcnt lgkmcnt(4)
	v_mul_f64 v[36:37], v[34:35], v[66:67]
	v_fma_f64 v[70:71], v[32:33], v[64:65], v[36:37]
	v_mul_f64 v[32:33], v[32:33], v[66:67]
	v_fma_f64 v[118:119], v[34:35], v[64:65], -v[32:33]
	v_or_b32_e32 v32, 64, v82
	v_mul_lo_u16_sdwa v33, v32, s4 dst_sel:DWORD dst_unused:UNUSED_PAD src0_sel:BYTE_0 src1_sel:DWORD
	v_lshrrev_b16_e32 v33, 11, v33
	v_mul_lo_u16_e32 v34, 10, v33
	v_sub_u16_e32 v32, v32, v34
	v_mul_u32_u24_sdwa v34, v32, v120 dst_sel:DWORD dst_unused:UNUSED_PAD src0_sel:BYTE_0 src1_sel:DWORD
	v_lshlrev_b32_e32 v42, 4, v34
	global_load_dwordx4 v[34:37], v42, s[12:13] offset:32
	global_load_dwordx4 v[38:41], v42, s[12:13] offset:16
	global_load_dwordx4 v[64:67], v42, s[12:13]
	s_waitcnt lgkmcnt(0)
	; wave barrier
	s_waitcnt lgkmcnt(0)
	s_movk_i32 s4, 0x280
	s_waitcnt vmcnt(0)
	v_mul_f64 v[42:43], v[30:31], v[66:67]
	v_fma_f64 v[120:121], v[28:29], v[64:65], v[42:43]
	v_mul_f64 v[28:29], v[28:29], v[66:67]
	v_add_f64 v[66:67], v[10:11], -v[95:96]
	v_add_f64 v[42:43], v[12:13], -v[114:115]
	v_fma_f64 v[122:123], v[30:31], v[64:65], -v[28:29]
	v_mul_f64 v[28:29], v[26:27], v[40:41]
	v_add_f64 v[30:31], v[18:19], -v[54:55]
	v_add_f64 v[54:55], v[8:9], -v[93:94]
	v_fma_f64 v[124:125], v[24:25], v[38:39], v[28:29]
	v_mul_f64 v[24:25], v[24:25], v[40:41]
	v_add_f64 v[40:41], v[78:79], -v[110:111]
	v_add_f64 v[28:29], v[16:17], -v[52:53]
	;; [unrolled: 1-line block ×3, first 2 shown]
	v_fma_f64 v[126:127], v[26:27], v[38:39], -v[24:25]
	v_mul_f64 v[24:25], v[22:23], v[36:37]
	v_add_f64 v[26:27], v[44:45], -v[48:49]
	v_fma_f64 v[48:49], v[10:11], 2.0, -v[66:67]
	v_add_f64 v[38:39], v[112:113], -v[76:77]
	v_add_f64 v[76:77], v[101:102], -v[70:71]
	v_fma_f64 v[128:129], v[20:21], v[34:35], v[24:25]
	v_add_f64 v[24:25], v[46:47], -v[50:51]
	v_add_f64 v[50:51], v[91:92], -v[99:100]
	v_mul_f64 v[20:21], v[20:21], v[36:37]
	v_add_f64 v[97:98], v[120:121], -v[128:129]
	v_fma_f64 v[10:11], v[91:92], 2.0, -v[50:51]
	v_add_f64 v[50:51], v[54:55], v[50:51]
	v_fma_f64 v[130:131], v[22:23], v[34:35], -v[20:21]
	v_fma_f64 v[22:23], v[18:19], 2.0, -v[30:31]
	v_fma_f64 v[18:19], v[46:47], 2.0, -v[24:25]
	;; [unrolled: 1-line block ×5, first 2 shown]
	v_add_f64 v[78:79], v[6:7], -v[68:69]
	v_fma_f64 v[64:65], v[54:55], 2.0, -v[50:51]
	v_add_f64 v[54:55], v[4:5], -v[74:75]
	v_add_f64 v[91:92], v[72:73], -v[118:119]
	v_fma_f64 v[68:69], v[101:102], 2.0, -v[76:77]
	v_fma_f64 v[20:21], v[16:17], 2.0, -v[28:29]
	;; [unrolled: 1-line block ×3, first 2 shown]
	v_add_f64 v[44:45], v[14:15], -v[108:109]
	v_fma_f64 v[6:7], v[6:7], 2.0, -v[78:79]
	v_add_f64 v[101:102], v[2:3], -v[126:127]
	v_fma_f64 v[4:5], v[4:5], 2.0, -v[54:55]
	v_fma_f64 v[70:71], v[72:73], 2.0, -v[91:92]
	v_add_f64 v[95:96], v[122:123], -v[130:131]
	v_fma_f64 v[8:9], v[116:117], 2.0, -v[52:53]
	v_add_f64 v[16:17], v[20:21], -v[16:17]
	v_fma_f64 v[36:37], v[14:15], 2.0, -v[44:45]
	v_fma_f64 v[14:15], v[112:113], 2.0, -v[38:39]
	v_add_f64 v[18:19], v[22:23], -v[18:19]
	v_add_f64 v[68:69], v[4:5], -v[68:69]
	;; [unrolled: 1-line block ×3, first 2 shown]
	v_add_f64 v[24:25], v[28:29], v[24:25]
	v_add_f64 v[26:27], v[30:31], -v[26:27]
	v_fma_f64 v[93:94], v[2:3], 2.0, -v[101:102]
	v_fma_f64 v[2:3], v[122:123], 2.0, -v[95:96]
	v_add_f64 v[12:13], v[34:35], -v[12:13]
	v_add_f64 v[14:15], v[36:37], -v[14:15]
	v_fma_f64 v[72:73], v[4:5], 2.0, -v[68:69]
	v_add_f64 v[4:5], v[54:55], v[91:92]
	v_fma_f64 v[74:75], v[6:7], 2.0, -v[70:71]
	v_add_f64 v[6:7], v[78:79], -v[76:77]
	v_add_f64 v[38:39], v[42:43], v[38:39]
	v_add_f64 v[40:41], v[44:45], -v[40:41]
	v_add_f64 v[8:9], v[46:47], -v[8:9]
	;; [unrolled: 1-line block ×4, first 2 shown]
	v_fma_f64 v[76:77], v[54:55], 2.0, -v[4:5]
	v_add_f64 v[54:55], v[0:1], -v[124:125]
	v_fma_f64 v[20:21], v[20:21], 2.0, -v[16:17]
	v_fma_f64 v[22:23], v[22:23], 2.0, -v[18:19]
	;; [unrolled: 1-line block ×4, first 2 shown]
	v_add_f64 v[2:3], v[93:94], -v[2:3]
	v_fma_f64 v[34:35], v[34:35], 2.0, -v[12:13]
	v_fma_f64 v[36:37], v[36:37], 2.0, -v[14:15]
	;; [unrolled: 1-line block ×4, first 2 shown]
	v_add_f64 v[95:96], v[54:55], v[95:96]
	v_add_f64 v[97:98], v[101:102], -v[97:98]
	v_fma_f64 v[42:43], v[42:43], 2.0, -v[38:39]
	v_fma_f64 v[44:45], v[44:45], 2.0, -v[40:41]
	;; [unrolled: 1-line block ×5, first 2 shown]
	v_add_f64 v[0:1], v[91:92], -v[0:1]
	v_fma_f64 v[99:100], v[54:55], 2.0, -v[95:96]
	v_mov_b32_e32 v54, 0x280
	v_cndmask_b32_e32 v54, 0, v54, vcc
	v_add_u32_e32 v54, 0, v54
	v_lshlrev_b32_e32 v55, 4, v57
	v_add3_u32 v54, v54, v55, v104
	v_fma_f64 v[78:79], v[78:79], 2.0, -v[6:7]
	ds_write_b128 v54, v[20:23]
	ds_write_b128 v54, v[28:31] offset:160
	ds_write_b128 v54, v[16:19] offset:320
	;; [unrolled: 1-line block ×3, first 2 shown]
	v_mov_b32_e32 v17, 4
	v_fma_f64 v[91:92], v[91:92], 2.0, -v[0:1]
	v_fma_f64 v[93:94], v[93:94], 2.0, -v[2:3]
	v_mad_u32_u24 v16, v58, s4, 0
	v_lshlrev_b32_sdwa v18, v17, v59 dst_sel:DWORD dst_unused:UNUSED_PAD src0_sel:DWORD src1_sel:BYTE_0
	v_fma_f64 v[101:102], v[101:102], 2.0, -v[97:98]
	v_add3_u32 v16, v16, v18, v104
	ds_write_b128 v16, v[34:37]
	ds_write_b128 v16, v[42:45] offset:160
	ds_write_b128 v16, v[12:15] offset:320
	ds_write_b128 v16, v[38:41] offset:480
	v_mad_u32_u24 v12, v60, s4, 0
	v_lshlrev_b32_sdwa v13, v17, v61 dst_sel:DWORD dst_unused:UNUSED_PAD src0_sel:DWORD src1_sel:BYTE_0
	v_add3_u32 v12, v12, v13, v104
	ds_write_b128 v12, v[46:49]
	ds_write_b128 v12, v[64:67] offset:160
	ds_write_b128 v12, v[8:11] offset:320
	ds_write_b128 v12, v[50:53] offset:480
	v_mad_u32_u24 v8, v62, s4, 0
	v_lshlrev_b32_sdwa v9, v17, v63 dst_sel:DWORD dst_unused:UNUSED_PAD src0_sel:DWORD src1_sel:BYTE_0
	;; [unrolled: 7-line block ×3, first 2 shown]
	v_mul_u32_u24_e32 v44, 3, v82
	v_add3_u32 v4, v4, v5, v104
	v_lshlrev_b32_e32 v79, 4, v44
	ds_write_b128 v4, v[91:94]
	ds_write_b128 v4, v[99:102] offset:160
	ds_write_b128 v4, v[0:3] offset:320
	;; [unrolled: 1-line block ×3, first 2 shown]
	s_waitcnt lgkmcnt(0)
	; wave barrier
	s_waitcnt lgkmcnt(0)
	ds_read_b128 v[16:19], v105
	ds_read_b128 v[46:49], v107 offset:1280
	ds_read_b128 v[57:60], v107 offset:2560
	;; [unrolled: 1-line block ×19, first 2 shown]
	global_load_dwordx4 v[108:111], v79, s[12:13] offset:512
	global_load_dwordx4 v[112:115], v79, s[12:13] offset:496
	;; [unrolled: 1-line block ×3, first 2 shown]
	v_cmp_gt_u32_e32 vcc, 40, v106
	s_movk_i32 s4, 0x1000
	s_waitcnt vmcnt(0) lgkmcnt(14)
	v_mul_f64 v[44:45], v[48:49], v[52:53]
	v_fma_f64 v[44:45], v[46:47], v[50:51], v[44:45]
	v_mul_f64 v[46:47], v[46:47], v[52:53]
	v_fma_f64 v[46:47], v[48:49], v[50:51], -v[46:47]
	v_mul_f64 v[48:49], v[59:60], v[114:115]
	v_mul_f64 v[50:51], v[61:62], v[110:111]
	v_fma_f64 v[52:53], v[57:58], v[112:113], v[48:49]
	v_mul_f64 v[48:49], v[57:58], v[114:115]
	v_fma_f64 v[50:51], v[63:64], v[108:109], -v[50:51]
	v_fma_f64 v[54:55], v[59:60], v[112:113], -v[48:49]
	v_mul_f64 v[48:49], v[63:64], v[110:111]
	v_fma_f64 v[48:49], v[61:62], v[108:109], v[48:49]
	global_load_dwordx4 v[57:60], v79, s[12:13] offset:1280
	global_load_dwordx4 v[61:64], v79, s[12:13] offset:1264
	;; [unrolled: 1-line block ×3, first 2 shown]
	s_waitcnt vmcnt(0)
	v_mul_f64 v[77:78], v[67:68], v[110:111]
	v_fma_f64 v[77:78], v[65:66], v[108:109], v[77:78]
	v_mul_f64 v[65:66], v[65:66], v[110:111]
	v_fma_f64 v[108:109], v[67:68], v[108:109], -v[65:66]
	s_waitcnt lgkmcnt(13)
	v_mul_f64 v[65:66], v[71:72], v[63:64]
	v_mul_f64 v[63:64], v[69:70], v[63:64]
	v_fma_f64 v[110:111], v[69:70], v[61:62], v[65:66]
	v_fma_f64 v[70:71], v[71:72], v[61:62], -v[63:64]
	s_waitcnt lgkmcnt(12)
	v_mul_f64 v[61:62], v[75:76], v[59:60]
	v_mul_f64 v[59:60], v[73:74], v[59:60]
	v_fma_f64 v[112:113], v[73:74], v[57:58], v[61:62]
	v_fma_f64 v[72:73], v[75:76], v[57:58], -v[59:60]
	v_add_u32_e32 v57, -8, v82
	v_cndmask_b32_e32 v57, v57, v106, vcc
	v_mul_i32_i24_e32 v82, 3, v57
	v_lshlrev_b64 v[58:59], 4, v[82:83]
	v_add_u32_e32 v76, 0x180, v79
	v_add_co_u32_e32 v74, vcc, s12, v58
	v_addc_co_u32_e32 v75, vcc, v56, v59, vcc
	global_load_dwordx4 v[58:61], v[74:75], off offset:512
	global_load_dwordx4 v[62:65], v[74:75], off offset:496
	;; [unrolled: 1-line block ×3, first 2 shown]
	v_cmp_lt_u32_e32 vcc, 39, v106
	s_waitcnt vmcnt(0) lgkmcnt(10)
	v_mul_f64 v[74:75], v[93:94], v[68:69]
	v_mul_f64 v[68:69], v[91:92], v[68:69]
	v_fma_f64 v[74:75], v[91:92], v[66:67], v[74:75]
	v_fma_f64 v[91:92], v[93:94], v[66:67], -v[68:69]
	s_waitcnt lgkmcnt(9)
	v_mul_f64 v[66:67], v[97:98], v[64:65]
	v_mul_f64 v[64:65], v[95:96], v[64:65]
	v_fma_f64 v[93:94], v[95:96], v[62:63], v[66:67]
	v_fma_f64 v[95:96], v[97:98], v[62:63], -v[64:65]
	s_waitcnt lgkmcnt(8)
	v_mul_f64 v[62:63], v[101:102], v[60:61]
	v_mul_f64 v[60:61], v[99:100], v[60:61]
	v_fma_f64 v[97:98], v[99:100], v[58:59], v[62:63]
	v_fma_f64 v[99:100], v[101:102], v[58:59], -v[60:61]
	global_load_dwordx4 v[58:61], v76, s[12:13] offset:512
	global_load_dwordx4 v[62:65], v76, s[12:13] offset:496
	global_load_dwordx4 v[66:69], v76, s[12:13] offset:480
	s_waitcnt vmcnt(0) lgkmcnt(6)
	v_mul_f64 v[101:102], v[42:43], v[68:69]
	v_fma_f64 v[101:102], v[40:41], v[66:67], v[101:102]
	v_mul_f64 v[40:41], v[40:41], v[68:69]
	v_fma_f64 v[66:67], v[42:43], v[66:67], -v[40:41]
	s_waitcnt lgkmcnt(5)
	v_mul_f64 v[40:41], v[38:39], v[64:65]
	v_fma_f64 v[68:69], v[36:37], v[62:63], v[40:41]
	v_mul_f64 v[36:37], v[36:37], v[64:65]
	v_add_f64 v[68:69], v[4:5], -v[68:69]
	v_fma_f64 v[62:63], v[38:39], v[62:63], -v[36:37]
	s_waitcnt lgkmcnt(4)
	v_mul_f64 v[36:37], v[34:35], v[60:61]
	v_fma_f64 v[64:65], v[32:33], v[58:59], v[36:37]
	v_mul_f64 v[32:33], v[32:33], v[60:61]
	v_add_u32_e32 v60, 0x480, v79
	v_add_f64 v[64:65], v[101:102], -v[64:65]
	v_fma_f64 v[58:59], v[34:35], v[58:59], -v[32:33]
	global_load_dwordx4 v[32:35], v60, s[12:13] offset:512
	global_load_dwordx4 v[36:39], v60, s[12:13] offset:496
	;; [unrolled: 1-line block ×3, first 2 shown]
	s_waitcnt lgkmcnt(0)
	; wave barrier
	s_waitcnt vmcnt(0) lgkmcnt(0)
	v_mul_f64 v[60:61], v[30:31], v[42:43]
	v_fma_f64 v[114:115], v[28:29], v[40:41], v[60:61]
	v_mul_f64 v[28:29], v[28:29], v[42:43]
	v_add_f64 v[42:43], v[14:15], -v[70:71]
	v_add_f64 v[70:71], v[6:7], -v[62:63]
	v_fma_f64 v[60:61], v[4:5], 2.0, -v[68:69]
	v_fma_f64 v[4:5], v[101:102], 2.0, -v[64:65]
	v_fma_f64 v[116:117], v[30:31], v[40:41], -v[28:29]
	v_mul_f64 v[28:29], v[26:27], v[38:39]
	v_fma_f64 v[62:63], v[6:7], 2.0, -v[70:71]
	v_add_f64 v[30:31], v[18:19], -v[54:55]
	v_add_f64 v[40:41], v[12:13], -v[110:111]
	;; [unrolled: 1-line block ×5, first 2 shown]
	v_fma_f64 v[118:119], v[24:25], v[36:37], v[28:29]
	v_mul_f64 v[24:25], v[24:25], v[38:39]
	v_add_f64 v[28:29], v[16:17], -v[52:53]
	v_add_f64 v[38:39], v[77:78], -v[112:113]
	;; [unrolled: 1-line block ×3, first 2 shown]
	v_fma_f64 v[120:121], v[26:27], v[36:37], -v[24:25]
	v_mul_f64 v[24:25], v[22:23], v[34:35]
	v_add_f64 v[36:37], v[108:109], -v[72:73]
	v_add_f64 v[72:73], v[66:67], -v[58:59]
	;; [unrolled: 1-line block ×4, first 2 shown]
	v_fma_f64 v[58:59], v[60:61], 2.0, -v[4:5]
	v_add_f64 v[93:94], v[2:3], -v[120:121]
	v_fma_f64 v[122:123], v[20:21], v[32:33], v[24:25]
	v_mul_f64 v[20:21], v[20:21], v[34:35]
	v_fma_f64 v[6:7], v[66:67], 2.0, -v[72:73]
	v_add_f64 v[24:25], v[46:47], -v[50:51]
	v_add_f64 v[50:51], v[74:75], -v[97:98]
	v_fma_f64 v[34:35], v[14:15], 2.0, -v[42:43]
	v_fma_f64 v[14:15], v[108:109], 2.0, -v[36:37]
	v_add_f64 v[36:37], v[40:41], v[36:37]
	v_fma_f64 v[124:125], v[22:23], v[32:33], -v[20:21]
	v_add_f64 v[6:7], v[62:63], -v[6:7]
	v_fma_f64 v[20:21], v[16:17], 2.0, -v[28:29]
	v_fma_f64 v[22:23], v[18:19], 2.0, -v[30:31]
	;; [unrolled: 1-line block ×11, first 2 shown]
	v_add_f64 v[62:63], v[68:69], v[72:73]
	v_add_f64 v[78:79], v[0:1], -v[118:119]
	v_add_f64 v[76:77], v[114:115], -v[122:123]
	;; [unrolled: 1-line block ×5, first 2 shown]
	v_add_f64 v[24:25], v[28:29], v[24:25]
	v_add_f64 v[26:27], v[30:31], -v[26:27]
	v_add_f64 v[12:13], v[32:33], -v[12:13]
	;; [unrolled: 1-line block ×5, first 2 shown]
	v_fma_f64 v[66:67], v[68:69], 2.0, -v[62:63]
	v_fma_f64 v[68:69], v[70:71], 2.0, -v[64:65]
	;; [unrolled: 1-line block ×6, first 2 shown]
	v_add_f64 v[38:39], v[42:43], -v[38:39]
	v_add_f64 v[48:49], v[52:53], v[48:49]
	v_add_f64 v[50:51], v[54:55], -v[50:51]
	v_fma_f64 v[20:21], v[20:21], 2.0, -v[16:17]
	v_fma_f64 v[22:23], v[22:23], 2.0, -v[18:19]
	;; [unrolled: 1-line block ×8, first 2 shown]
	v_add_f64 v[0:1], v[70:71], -v[0:1]
	v_add_f64 v[2:3], v[72:73], -v[2:3]
	v_add_f64 v[74:75], v[78:79], v[74:75]
	v_add_f64 v[76:77], v[93:94], -v[76:77]
	v_fma_f64 v[40:41], v[40:41], 2.0, -v[36:37]
	v_fma_f64 v[42:43], v[42:43], 2.0, -v[38:39]
	;; [unrolled: 1-line block ×4, first 2 shown]
	ds_write_b128 v107, v[20:23]
	ds_write_b128 v107, v[28:31] offset:640
	ds_write_b128 v107, v[16:19] offset:1280
	;; [unrolled: 1-line block ×7, first 2 shown]
	v_mov_b32_e32 v12, 0xa00
	v_cndmask_b32_e32 v12, 0, v12, vcc
	v_add_u32_e32 v12, 0, v12
	v_lshlrev_b32_e32 v13, 4, v57
	v_add3_u32 v12, v12, v13, v104
	v_fma_f64 v[70:71], v[70:71], 2.0, -v[0:1]
	v_fma_f64 v[72:73], v[72:73], 2.0, -v[2:3]
	;; [unrolled: 1-line block ×4, first 2 shown]
	ds_write_b128 v12, v[44:47]
	ds_write_b128 v12, v[52:55] offset:640
	ds_write_b128 v12, v[8:11] offset:1280
	ds_write_b128 v12, v[48:51] offset:1920
	ds_write_b128 v107, v[58:61] offset:2688
	ds_write_b128 v107, v[66:69] offset:3328
	ds_write_b128 v107, v[4:7] offset:3968
	ds_write_b128 v107, v[62:65] offset:4608
	ds_write_b128 v107, v[70:73] offset:2944
	ds_write_b128 v107, v[91:94] offset:3584
	ds_write_b128 v107, v[0:3] offset:4224
	ds_write_b128 v107, v[74:77] offset:4864
	v_add_co_u32_e32 v77, vcc, s12, v87
	v_addc_co_u32_e32 v78, vcc, v56, v88, vcc
	s_waitcnt lgkmcnt(0)
	; wave barrier
	s_waitcnt lgkmcnt(0)
	ds_read_b128 v[36:39], v105
	ds_read_b128 v[44:47], v107 offset:2560
	ds_read_b128 v[32:35], v107 offset:256
	;; [unrolled: 1-line block ×19, first 2 shown]
	global_load_dwordx4 v[95:98], v[77:78], off offset:2400
	v_add_co_u32_e32 v89, vcc, s12, v89
	v_addc_co_u32_e32 v90, vcc, v56, v90, vcc
	s_waitcnt vmcnt(0) lgkmcnt(14)
	v_mul_f64 v[77:78], v[46:47], v[97:98]
	v_fma_f64 v[77:78], v[44:45], v[95:96], v[77:78]
	v_mul_f64 v[44:45], v[44:45], v[97:98]
	v_fma_f64 v[87:88], v[46:47], v[95:96], -v[44:45]
	global_load_dwordx4 v[44:47], v[89:90], off offset:2656
	s_waitcnt vmcnt(0)
	v_mul_f64 v[95:96], v[50:51], v[46:47]
	v_mul_f64 v[46:47], v[48:49], v[46:47]
	v_fma_f64 v[95:96], v[48:49], v[44:45], v[95:96]
	v_fma_f64 v[48:49], v[50:51], v[44:45], -v[46:47]
	global_load_dwordx4 v[44:47], v[89:90], off offset:2912
	s_waitcnt vmcnt(0)
	v_mul_f64 v[50:51], v[54:55], v[46:47]
	v_mul_f64 v[46:47], v[52:53], v[46:47]
	v_fma_f64 v[50:51], v[52:53], v[44:45], v[50:51]
	v_fma_f64 v[52:53], v[54:55], v[44:45], -v[46:47]
	global_load_dwordx4 v[44:47], v[89:90], off offset:3168
	s_waitcnt vmcnt(0) lgkmcnt(12)
	v_mul_f64 v[54:55], v[59:60], v[46:47]
	v_mul_f64 v[46:47], v[57:58], v[46:47]
	v_fma_f64 v[54:55], v[57:58], v[44:45], v[54:55]
	v_fma_f64 v[56:57], v[59:60], v[44:45], -v[46:47]
	global_load_dwordx4 v[44:47], v[89:90], off offset:3424
	s_waitcnt vmcnt(0) lgkmcnt(10)
	v_mul_f64 v[58:59], v[63:64], v[46:47]
	v_mul_f64 v[46:47], v[61:62], v[46:47]
	v_fma_f64 v[58:59], v[61:62], v[44:45], v[58:59]
	v_fma_f64 v[60:61], v[63:64], v[44:45], -v[46:47]
	global_load_dwordx4 v[44:47], v[89:90], off offset:3680
	s_waitcnt vmcnt(0) lgkmcnt(8)
	v_mul_f64 v[62:63], v[67:68], v[46:47]
	v_mul_f64 v[46:47], v[65:66], v[46:47]
	v_fma_f64 v[62:63], v[65:66], v[44:45], v[62:63]
	v_fma_f64 v[64:65], v[67:68], v[44:45], -v[46:47]
	global_load_dwordx4 v[44:47], v[89:90], off offset:3936
	s_waitcnt vmcnt(0) lgkmcnt(6)
	v_mul_f64 v[66:67], v[71:72], v[46:47]
	v_mul_f64 v[46:47], v[69:70], v[46:47]
	v_fma_f64 v[66:67], v[69:70], v[44:45], v[66:67]
	v_add_co_u32_e32 v70, vcc, s4, v89
	v_fma_f64 v[68:69], v[71:72], v[44:45], -v[46:47]
	v_addc_co_u32_e32 v71, vcc, 0, v90, vcc
	global_load_dwordx4 v[44:47], v[70:71], off offset:96
	s_waitcnt vmcnt(0) lgkmcnt(4)
	v_mul_f64 v[89:90], v[75:76], v[46:47]
	v_mul_f64 v[46:47], v[73:74], v[46:47]
	v_fma_f64 v[89:90], v[73:74], v[44:45], v[89:90]
	v_fma_f64 v[72:73], v[75:76], v[44:45], -v[46:47]
	global_load_dwordx4 v[44:47], v[70:71], off offset:352
	s_waitcnt vmcnt(0) lgkmcnt(2)
	v_mul_f64 v[74:75], v[93:94], v[46:47]
	v_mul_f64 v[46:47], v[91:92], v[46:47]
	v_fma_f64 v[74:75], v[91:92], v[44:45], v[74:75]
	v_fma_f64 v[91:92], v[93:94], v[44:45], -v[46:47]
	global_load_dwordx4 v[44:47], v[70:71], off offset:608
	s_waitcnt lgkmcnt(0)
	; wave barrier
	s_waitcnt vmcnt(0) lgkmcnt(0)
	v_mul_f64 v[70:71], v[42:43], v[46:47]
	v_fma_f64 v[93:94], v[40:41], v[44:45], v[70:71]
	v_mul_f64 v[40:41], v[40:41], v[46:47]
	v_add_f64 v[46:47], v[34:35], -v[48:49]
	v_add_f64 v[48:49], v[28:29], -v[50:51]
	;; [unrolled: 1-line block ×7, first 2 shown]
	v_fma_f64 v[97:98], v[42:43], v[44:45], -v[40:41]
	v_add_f64 v[40:41], v[36:37], -v[77:78]
	v_add_f64 v[42:43], v[38:39], -v[87:88]
	v_add_f64 v[44:45], v[32:33], -v[95:96]
	v_add_f64 v[60:61], v[16:17], -v[62:63]
	v_add_f64 v[62:63], v[18:19], -v[64:65]
	v_add_f64 v[64:65], v[12:13], -v[66:67]
	v_add_f64 v[66:67], v[14:15], -v[68:69]
	v_add_f64 v[68:69], v[8:9], -v[89:90]
	v_fma_f64 v[36:37], v[36:37], 2.0, -v[40:41]
	v_fma_f64 v[38:39], v[38:39], 2.0, -v[42:43]
	v_add_f64 v[70:71], v[10:11], -v[72:73]
	v_add_f64 v[72:73], v[4:5], -v[74:75]
	;; [unrolled: 1-line block ×5, first 2 shown]
	v_fma_f64 v[32:33], v[32:33], 2.0, -v[44:45]
	v_fma_f64 v[34:35], v[34:35], 2.0, -v[46:47]
	v_fma_f64 v[28:29], v[28:29], 2.0, -v[48:49]
	v_fma_f64 v[30:31], v[30:31], 2.0, -v[50:51]
	v_fma_f64 v[24:25], v[24:25], 2.0, -v[52:53]
	v_fma_f64 v[26:27], v[26:27], 2.0, -v[54:55]
	v_fma_f64 v[20:21], v[20:21], 2.0, -v[56:57]
	v_fma_f64 v[22:23], v[22:23], 2.0, -v[58:59]
	v_fma_f64 v[16:17], v[16:17], 2.0, -v[60:61]
	v_fma_f64 v[18:19], v[18:19], 2.0, -v[62:63]
	v_fma_f64 v[12:13], v[12:13], 2.0, -v[64:65]
	v_fma_f64 v[14:15], v[14:15], 2.0, -v[66:67]
	v_fma_f64 v[8:9], v[8:9], 2.0, -v[68:69]
	v_fma_f64 v[10:11], v[10:11], 2.0, -v[70:71]
	v_fma_f64 v[4:5], v[4:5], 2.0, -v[72:73]
	v_fma_f64 v[6:7], v[6:7], 2.0, -v[74:75]
	v_fma_f64 v[0:1], v[0:1], 2.0, -v[76:77]
	v_fma_f64 v[2:3], v[2:3], 2.0, -v[78:79]
	ds_write_b128 v107, v[36:39]
	ds_write_b128 v107, v[40:43] offset:2560
	ds_write_b128 v107, v[32:35] offset:256
	;; [unrolled: 1-line block ×19, first 2 shown]
	s_waitcnt lgkmcnt(0)
	; wave barrier
	s_waitcnt lgkmcnt(0)
	s_and_saveexec_b64 s[4:5], s[0:1]
	s_cbranch_execz .LBB0_21
; %bb.20:
	v_mul_lo_u32 v0, s3, v84
	v_mul_lo_u32 v1, s2, v85
	v_mad_u64_u32 v[4:5], s[0:1], s2, v84, 0
	v_mov_b32_e32 v6, s11
	v_lshl_add_u32 v10, v86, 4, v103
	v_add3_u32 v5, v5, v1, v0
	v_lshlrev_b64 v[4:5], 4, v[4:5]
	v_mov_b32_e32 v87, v83
	v_add_co_u32_e32 v7, vcc, s10, v4
	v_addc_co_u32_e32 v6, vcc, v6, v5, vcc
	v_lshlrev_b64 v[4:5], 4, v[80:81]
	ds_read_b128 v[0:3], v10
	v_add_co_u32_e32 v11, vcc, v7, v4
	v_addc_co_u32_e32 v12, vcc, v6, v5, vcc
	v_lshlrev_b64 v[4:5], 4, v[86:87]
	v_add_u32_e32 v82, 16, v86
	v_add_co_u32_e32 v8, vcc, v11, v4
	v_addc_co_u32_e32 v9, vcc, v12, v5, vcc
	ds_read_b128 v[4:7], v10 offset:256
	s_waitcnt lgkmcnt(1)
	global_store_dwordx4 v[8:9], v[0:3], off
	s_nop 0
	v_lshlrev_b64 v[0:1], 4, v[82:83]
	v_add_u32_e32 v82, 32, v86
	v_add_co_u32_e32 v0, vcc, v11, v0
	v_addc_co_u32_e32 v1, vcc, v12, v1, vcc
	s_waitcnt lgkmcnt(0)
	global_store_dwordx4 v[0:1], v[4:7], off
	ds_read_b128 v[0:3], v10 offset:512
	v_lshlrev_b64 v[4:5], 4, v[82:83]
	v_add_u32_e32 v82, 48, v86
	v_add_co_u32_e32 v8, vcc, v11, v4
	v_addc_co_u32_e32 v9, vcc, v12, v5, vcc
	ds_read_b128 v[4:7], v10 offset:768
	s_waitcnt lgkmcnt(1)
	global_store_dwordx4 v[8:9], v[0:3], off
	s_nop 0
	v_lshlrev_b64 v[0:1], 4, v[82:83]
	v_add_u32_e32 v82, 64, v86
	v_add_co_u32_e32 v0, vcc, v11, v0
	v_addc_co_u32_e32 v1, vcc, v12, v1, vcc
	s_waitcnt lgkmcnt(0)
	global_store_dwordx4 v[0:1], v[4:7], off
	ds_read_b128 v[0:3], v10 offset:1024
	;; [unrolled: 15-line block ×9, first 2 shown]
	v_lshlrev_b64 v[4:5], 4, v[82:83]
	v_add_u32_e32 v82, 0x130, v86
	v_add_co_u32_e32 v8, vcc, v11, v4
	v_addc_co_u32_e32 v9, vcc, v12, v5, vcc
	ds_read_b128 v[4:7], v10 offset:4864
	s_waitcnt lgkmcnt(1)
	global_store_dwordx4 v[8:9], v[0:3], off
	s_nop 0
	v_lshlrev_b64 v[0:1], 4, v[82:83]
	v_add_co_u32_e32 v0, vcc, v11, v0
	v_addc_co_u32_e32 v1, vcc, v12, v1, vcc
	s_waitcnt lgkmcnt(0)
	global_store_dwordx4 v[0:1], v[4:7], off
.LBB0_21:
	s_endpgm
	.section	.rodata,"a",@progbits
	.p2align	6, 0x0
	.amdhsa_kernel fft_rtc_back_len320_factors_10_4_4_2_wgs_64_tpt_16_halfLds_dp_op_CI_CI_unitstride_sbrr_C2R_dirReg
		.amdhsa_group_segment_fixed_size 0
		.amdhsa_private_segment_fixed_size 0
		.amdhsa_kernarg_size 104
		.amdhsa_user_sgpr_count 6
		.amdhsa_user_sgpr_private_segment_buffer 1
		.amdhsa_user_sgpr_dispatch_ptr 0
		.amdhsa_user_sgpr_queue_ptr 0
		.amdhsa_user_sgpr_kernarg_segment_ptr 1
		.amdhsa_user_sgpr_dispatch_id 0
		.amdhsa_user_sgpr_flat_scratch_init 0
		.amdhsa_user_sgpr_private_segment_size 0
		.amdhsa_uses_dynamic_stack 0
		.amdhsa_system_sgpr_private_segment_wavefront_offset 0
		.amdhsa_system_sgpr_workgroup_id_x 1
		.amdhsa_system_sgpr_workgroup_id_y 0
		.amdhsa_system_sgpr_workgroup_id_z 0
		.amdhsa_system_sgpr_workgroup_info 0
		.amdhsa_system_vgpr_workitem_id 0
		.amdhsa_next_free_vgpr 132
		.amdhsa_next_free_sgpr 28
		.amdhsa_reserve_vcc 1
		.amdhsa_reserve_flat_scratch 0
		.amdhsa_float_round_mode_32 0
		.amdhsa_float_round_mode_16_64 0
		.amdhsa_float_denorm_mode_32 3
		.amdhsa_float_denorm_mode_16_64 3
		.amdhsa_dx10_clamp 1
		.amdhsa_ieee_mode 1
		.amdhsa_fp16_overflow 0
		.amdhsa_exception_fp_ieee_invalid_op 0
		.amdhsa_exception_fp_denorm_src 0
		.amdhsa_exception_fp_ieee_div_zero 0
		.amdhsa_exception_fp_ieee_overflow 0
		.amdhsa_exception_fp_ieee_underflow 0
		.amdhsa_exception_fp_ieee_inexact 0
		.amdhsa_exception_int_div_zero 0
	.end_amdhsa_kernel
	.text
.Lfunc_end0:
	.size	fft_rtc_back_len320_factors_10_4_4_2_wgs_64_tpt_16_halfLds_dp_op_CI_CI_unitstride_sbrr_C2R_dirReg, .Lfunc_end0-fft_rtc_back_len320_factors_10_4_4_2_wgs_64_tpt_16_halfLds_dp_op_CI_CI_unitstride_sbrr_C2R_dirReg
                                        ; -- End function
	.section	.AMDGPU.csdata,"",@progbits
; Kernel info:
; codeLenInByte = 12076
; NumSgprs: 32
; NumVgprs: 132
; ScratchSize: 0
; MemoryBound: 0
; FloatMode: 240
; IeeeMode: 1
; LDSByteSize: 0 bytes/workgroup (compile time only)
; SGPRBlocks: 3
; VGPRBlocks: 32
; NumSGPRsForWavesPerEU: 32
; NumVGPRsForWavesPerEU: 132
; Occupancy: 1
; WaveLimiterHint : 1
; COMPUTE_PGM_RSRC2:SCRATCH_EN: 0
; COMPUTE_PGM_RSRC2:USER_SGPR: 6
; COMPUTE_PGM_RSRC2:TRAP_HANDLER: 0
; COMPUTE_PGM_RSRC2:TGID_X_EN: 1
; COMPUTE_PGM_RSRC2:TGID_Y_EN: 0
; COMPUTE_PGM_RSRC2:TGID_Z_EN: 0
; COMPUTE_PGM_RSRC2:TIDIG_COMP_CNT: 0
	.type	__hip_cuid_5ff80fb9494c9dcc,@object ; @__hip_cuid_5ff80fb9494c9dcc
	.section	.bss,"aw",@nobits
	.globl	__hip_cuid_5ff80fb9494c9dcc
__hip_cuid_5ff80fb9494c9dcc:
	.byte	0                               ; 0x0
	.size	__hip_cuid_5ff80fb9494c9dcc, 1

	.ident	"AMD clang version 19.0.0git (https://github.com/RadeonOpenCompute/llvm-project roc-6.4.0 25133 c7fe45cf4b819c5991fe208aaa96edf142730f1d)"
	.section	".note.GNU-stack","",@progbits
	.addrsig
	.addrsig_sym __hip_cuid_5ff80fb9494c9dcc
	.amdgpu_metadata
---
amdhsa.kernels:
  - .args:
      - .actual_access:  read_only
        .address_space:  global
        .offset:         0
        .size:           8
        .value_kind:     global_buffer
      - .offset:         8
        .size:           8
        .value_kind:     by_value
      - .actual_access:  read_only
        .address_space:  global
        .offset:         16
        .size:           8
        .value_kind:     global_buffer
      - .actual_access:  read_only
        .address_space:  global
        .offset:         24
        .size:           8
        .value_kind:     global_buffer
      - .actual_access:  read_only
        .address_space:  global
        .offset:         32
        .size:           8
        .value_kind:     global_buffer
      - .offset:         40
        .size:           8
        .value_kind:     by_value
      - .actual_access:  read_only
        .address_space:  global
        .offset:         48
        .size:           8
        .value_kind:     global_buffer
      - .actual_access:  read_only
        .address_space:  global
        .offset:         56
        .size:           8
        .value_kind:     global_buffer
      - .offset:         64
        .size:           4
        .value_kind:     by_value
      - .actual_access:  read_only
        .address_space:  global
        .offset:         72
        .size:           8
        .value_kind:     global_buffer
      - .actual_access:  read_only
        .address_space:  global
        .offset:         80
        .size:           8
        .value_kind:     global_buffer
      - .actual_access:  read_only
        .address_space:  global
        .offset:         88
        .size:           8
        .value_kind:     global_buffer
      - .actual_access:  write_only
        .address_space:  global
        .offset:         96
        .size:           8
        .value_kind:     global_buffer
    .group_segment_fixed_size: 0
    .kernarg_segment_align: 8
    .kernarg_segment_size: 104
    .language:       OpenCL C
    .language_version:
      - 2
      - 0
    .max_flat_workgroup_size: 64
    .name:           fft_rtc_back_len320_factors_10_4_4_2_wgs_64_tpt_16_halfLds_dp_op_CI_CI_unitstride_sbrr_C2R_dirReg
    .private_segment_fixed_size: 0
    .sgpr_count:     32
    .sgpr_spill_count: 0
    .symbol:         fft_rtc_back_len320_factors_10_4_4_2_wgs_64_tpt_16_halfLds_dp_op_CI_CI_unitstride_sbrr_C2R_dirReg.kd
    .uniform_work_group_size: 1
    .uses_dynamic_stack: false
    .vgpr_count:     132
    .vgpr_spill_count: 0
    .wavefront_size: 64
amdhsa.target:   amdgcn-amd-amdhsa--gfx906
amdhsa.version:
  - 1
  - 2
...

	.end_amdgpu_metadata
